;; amdgpu-corpus repo=zjin-lcf/HeCBench kind=compiled arch=gfx906 opt=O3
	.amdgcn_target "amdgcn-amd-amdhsa--gfx906"
	.amdhsa_code_object_version 6
	.text
	.protected	_Z15kernel_distancePK15HIP_vector_typeIfLj4EEPfi ; -- Begin function _Z15kernel_distancePK15HIP_vector_typeIfLj4EEPfi
	.globl	_Z15kernel_distancePK15HIP_vector_typeIfLj4EEPfi
	.p2align	8
	.type	_Z15kernel_distancePK15HIP_vector_typeIfLj4EEPfi,@function
_Z15kernel_distancePK15HIP_vector_typeIfLj4EEPfi: ; @_Z15kernel_distancePK15HIP_vector_typeIfLj4EEPfi
; %bb.0:
	s_load_dword s0, s[4:5], 0x24
	s_load_dword s1, s[4:5], 0x10
	s_waitcnt lgkmcnt(0)
	s_and_b32 s0, s0, 0xffff
	s_mul_i32 s6, s6, s0
	v_add_u32_e32 v4, s6, v0
	v_cmp_gt_i32_e32 vcc, s1, v4
	s_and_saveexec_b64 s[0:1], vcc
	s_cbranch_execz .LBB0_30
; %bb.1:
	s_load_dwordx2 s[0:1], s[4:5], 0x0
	v_ashrrev_i32_e32 v5, 31, v4
	v_lshlrev_b64 v[0:1], 4, v[4:5]
                                        ; implicit-def: $vgpr10
                                        ; implicit-def: $vgpr11
	s_waitcnt lgkmcnt(0)
	v_mov_b32_e32 v2, s1
	v_add_co_u32_e32 v0, vcc, s0, v0
	v_addc_co_u32_e32 v1, vcc, v2, v1, vcc
	global_load_dwordx4 v[0:3], v[0:1], off
	s_brev_b32 s0, 18
	s_waitcnt vmcnt(0)
	v_mul_f32_e32 v0, 0x3c8efa35, v0
	v_and_b32_e32 v9, 0x7fffffff, v0
	v_cmp_nlt_f32_e64 s[8:9], |v0|, s0
	v_lshrrev_b32_e32 v6, 23, v9
	s_and_saveexec_b64 s[0:1], s[8:9]
	s_xor_b64 s[10:11], exec, s[0:1]
	s_cbranch_execz .LBB0_3
; %bb.2:
	v_and_b32_e32 v7, 0x7fffff, v9
	v_or_b32_e32 v18, 0x800000, v7
	s_mov_b32 s0, 0xfe5163ab
	v_mad_u64_u32 v[7:8], s[0:1], v18, s0, 0
	v_mov_b32_e32 v11, 0
	s_mov_b32 s0, 0x3c439041
	v_mov_b32_e32 v10, v8
	v_mad_u64_u32 v[12:13], s[0:1], v18, s0, v[10:11]
	s_mov_b32 s0, 0xdb629599
	v_add_u32_e32 v8, 0xffffff88, v6
	v_mov_b32_e32 v10, v13
	v_mad_u64_u32 v[13:14], s[0:1], v18, s0, v[10:11]
	s_mov_b32 s0, 0xf534ddc0
	v_not_b32_e32 v17, 63
	v_mov_b32_e32 v10, v14
	v_mad_u64_u32 v[14:15], s[0:1], v18, s0, v[10:11]
	s_mov_b32 s0, 0xfc2757d1
	v_cmp_lt_u32_e32 vcc, 63, v8
	v_mov_b32_e32 v10, v15
	v_mad_u64_u32 v[15:16], s[0:1], v18, s0, v[10:11]
	v_cndmask_b32_e32 v10, 0, v17, vcc
	v_add_u32_e32 v8, v10, v8
	v_mov_b32_e32 v10, v16
	s_mov_b32 s0, 0x4e441529
	v_mad_u64_u32 v[16:17], s[0:1], v18, s0, v[10:11]
	v_not_b32_e32 v19, 31
	v_cmp_lt_u32_e64 s[0:1], 31, v8
	v_cndmask_b32_e64 v10, 0, v19, s[0:1]
	v_add_u32_e32 v8, v10, v8
	v_mov_b32_e32 v10, v17
	s_mov_b32 s2, 0xa2f9836e
	v_mad_u64_u32 v[10:11], s[2:3], v18, s2, v[10:11]
	v_cmp_lt_u32_e64 s[2:3], 31, v8
	v_cndmask_b32_e64 v17, 0, v19, s[2:3]
	v_add_u32_e32 v8, v17, v8
	v_cndmask_b32_e32 v17, v16, v14, vcc
	v_cndmask_b32_e32 v10, v10, v15, vcc
	;; [unrolled: 1-line block ×3, first 2 shown]
	v_cndmask_b32_e64 v18, v10, v17, s[0:1]
	v_cndmask_b32_e64 v10, v11, v10, s[0:1]
	v_cndmask_b32_e32 v11, v15, v13, vcc
	v_cndmask_b32_e64 v15, v17, v11, s[0:1]
	v_cndmask_b32_e64 v10, v10, v18, s[2:3]
	;; [unrolled: 1-line block ×3, first 2 shown]
	v_sub_u32_e32 v17, 32, v8
	v_alignbit_b32 v18, v10, v16, v17
	v_cmp_eq_u32_e64 s[6:7], 0, v8
	v_cndmask_b32_e64 v8, v18, v10, s[6:7]
	v_cndmask_b32_e32 v10, v14, v12, vcc
	v_cndmask_b32_e64 v11, v11, v10, s[0:1]
	v_cndmask_b32_e64 v12, v15, v11, s[2:3]
	v_alignbit_b32 v14, v16, v12, v17
	v_cndmask_b32_e32 v7, v13, v7, vcc
	v_cndmask_b32_e64 v14, v14, v16, s[6:7]
	v_bfe_u32 v18, v8, 29, 1
	v_cndmask_b32_e64 v7, v10, v7, s[0:1]
	v_alignbit_b32 v15, v8, v14, 30
	v_sub_u32_e32 v19, 0, v18
	v_cndmask_b32_e64 v7, v11, v7, s[2:3]
	v_xor_b32_e32 v15, v15, v19
	v_alignbit_b32 v10, v12, v7, v17
	v_cndmask_b32_e64 v10, v10, v12, s[6:7]
	v_ffbh_u32_e32 v12, v15
	v_alignbit_b32 v11, v14, v10, 30
	v_min_u32_e32 v12, 32, v12
	v_alignbit_b32 v7, v10, v7, 30
	v_xor_b32_e32 v11, v11, v19
	v_sub_u32_e32 v13, 31, v12
	v_xor_b32_e32 v7, v7, v19
	v_alignbit_b32 v14, v15, v11, v13
	v_alignbit_b32 v7, v11, v7, v13
	;; [unrolled: 1-line block ×3, first 2 shown]
	v_ffbh_u32_e32 v11, v10
	v_min_u32_e32 v11, 32, v11
	v_lshrrev_b32_e32 v16, 29, v8
	v_not_b32_e32 v13, v11
	v_alignbit_b32 v7, v10, v7, v13
	v_lshlrev_b32_e32 v10, 31, v16
	v_or_b32_e32 v13, 0x33000000, v10
	v_add_lshl_u32 v11, v11, v12, 23
	v_lshrrev_b32_e32 v7, 9, v7
	v_sub_u32_e32 v11, v13, v11
	v_or_b32_e32 v10, 0.5, v10
	v_lshlrev_b32_e32 v12, 23, v12
	v_or_b32_e32 v7, v11, v7
	v_lshrrev_b32_e32 v11, 9, v14
	v_sub_u32_e32 v10, v10, v12
	v_or_b32_e32 v10, v11, v10
	s_mov_b32 s0, 0x3fc90fda
	v_mul_f32_e32 v11, 0x3fc90fda, v10
	v_fma_f32 v12, v10, s0, -v11
	v_fmac_f32_e32 v12, 0x33a22168, v10
	v_fmac_f32_e32 v12, 0x3fc90fda, v7
	v_lshrrev_b32_e32 v7, 30, v8
	v_add_f32_e32 v11, v11, v12
	v_add_u32_e32 v10, v18, v7
	s_andn2_saveexec_b64 s[0:1], s[10:11]
	s_cbranch_execz .LBB0_5
	s_branch .LBB0_4
.LBB0_3:
	s_andn2_saveexec_b64 s[0:1], s[10:11]
	s_cbranch_execz .LBB0_5
.LBB0_4:
	s_mov_b32 s2, 0x3f22f983
	v_mul_f32_e64 v7, |v0|, s2
	v_rndne_f32_e32 v7, v7
	s_mov_b32 s2, 0xbfc90fda
	v_cvt_i32_f32_e32 v10, v7
	v_fma_f32 v11, v7, s2, |v0|
	v_fmac_f32_e32 v11, 0xb3a22168, v7
	v_fmac_f32_e32 v11, 0xa7c234c4, v7
.LBB0_5:
	s_or_b64 exec, exec, s[0:1]
                                        ; implicit-def: $vgpr12
                                        ; implicit-def: $vgpr13
	s_and_saveexec_b64 s[0:1], s[8:9]
	s_xor_b64 s[8:9], exec, s[0:1]
	s_cbranch_execz .LBB0_7
; %bb.6:
	v_and_b32_e32 v7, 0x7fffff, v9
	v_or_b32_e32 v20, 0x800000, v7
	s_mov_b32 s0, 0xfe5163ab
	v_mad_u64_u32 v[7:8], s[0:1], v20, s0, 0
	v_mov_b32_e32 v13, 0
	s_mov_b32 s0, 0x3c439041
	v_mov_b32_e32 v12, v8
	v_mad_u64_u32 v[14:15], s[0:1], v20, s0, v[12:13]
	s_mov_b32 s0, 0xdb629599
	v_add_u32_e32 v6, 0xffffff88, v6
	v_mov_b32_e32 v12, v15
	v_mad_u64_u32 v[15:16], s[0:1], v20, s0, v[12:13]
	s_mov_b32 s0, 0xf534ddc0
	v_not_b32_e32 v8, 63
	v_mov_b32_e32 v12, v16
	v_mad_u64_u32 v[16:17], s[0:1], v20, s0, v[12:13]
	s_mov_b32 s0, 0xfc2757d1
	v_cmp_lt_u32_e32 vcc, 63, v6
	v_mov_b32_e32 v12, v17
	v_mad_u64_u32 v[17:18], s[0:1], v20, s0, v[12:13]
	s_mov_b32 s0, 0x4e441529
	v_cndmask_b32_e32 v8, 0, v8, vcc
	v_mov_b32_e32 v12, v18
	v_mad_u64_u32 v[18:19], s[0:1], v20, s0, v[12:13]
	v_add_u32_e32 v6, v8, v6
	v_not_b32_e32 v8, 31
	v_cmp_lt_u32_e64 s[0:1], 31, v6
	v_cndmask_b32_e64 v12, 0, v8, s[0:1]
	v_add_u32_e32 v6, v12, v6
	v_mov_b32_e32 v12, v19
	s_mov_b32 s2, 0xa2f9836e
	v_mad_u64_u32 v[12:13], s[2:3], v20, s2, v[12:13]
	v_cmp_lt_u32_e64 s[2:3], 31, v6
	v_cndmask_b32_e64 v8, 0, v8, s[2:3]
	v_add_u32_e32 v6, v8, v6
	v_cndmask_b32_e32 v8, v18, v16, vcc
	v_cndmask_b32_e32 v12, v12, v17, vcc
	v_cndmask_b32_e32 v13, v13, v18, vcc
	v_cndmask_b32_e64 v19, v12, v8, s[0:1]
	v_cndmask_b32_e64 v12, v13, v12, s[0:1]
	v_cndmask_b32_e32 v13, v17, v15, vcc
	v_cndmask_b32_e64 v8, v8, v13, s[0:1]
	v_cndmask_b32_e64 v12, v12, v19, s[2:3]
	;; [unrolled: 1-line block ×3, first 2 shown]
	v_sub_u32_e32 v18, 32, v6
	v_alignbit_b32 v19, v12, v17, v18
	v_cmp_eq_u32_e64 s[6:7], 0, v6
	v_cndmask_b32_e64 v6, v19, v12, s[6:7]
	v_cndmask_b32_e32 v12, v16, v14, vcc
	v_cndmask_b32_e64 v13, v13, v12, s[0:1]
	v_cndmask_b32_e64 v8, v8, v13, s[2:3]
	v_alignbit_b32 v14, v17, v8, v18
	v_cndmask_b32_e32 v7, v15, v7, vcc
	v_cndmask_b32_e64 v14, v14, v17, s[6:7]
	v_bfe_u32 v19, v6, 29, 1
	v_cndmask_b32_e64 v7, v12, v7, s[0:1]
	v_alignbit_b32 v16, v6, v14, 30
	v_sub_u32_e32 v20, 0, v19
	v_cndmask_b32_e64 v7, v13, v7, s[2:3]
	v_xor_b32_e32 v16, v16, v20
	v_alignbit_b32 v12, v8, v7, v18
	v_cndmask_b32_e64 v8, v12, v8, s[6:7]
	v_ffbh_u32_e32 v13, v16
	v_alignbit_b32 v12, v14, v8, 30
	v_min_u32_e32 v13, 32, v13
	v_alignbit_b32 v7, v8, v7, 30
	v_xor_b32_e32 v12, v12, v20
	v_sub_u32_e32 v14, 31, v13
	v_xor_b32_e32 v7, v7, v20
	v_alignbit_b32 v15, v16, v12, v14
	v_alignbit_b32 v7, v12, v7, v14
	;; [unrolled: 1-line block ×3, first 2 shown]
	v_ffbh_u32_e32 v12, v8
	v_min_u32_e32 v12, 32, v12
	v_lshrrev_b32_e32 v17, 29, v6
	v_not_b32_e32 v14, v12
	v_alignbit_b32 v7, v8, v7, v14
	v_lshlrev_b32_e32 v8, 31, v17
	v_or_b32_e32 v14, 0x33000000, v8
	v_add_lshl_u32 v12, v12, v13, 23
	v_lshrrev_b32_e32 v7, 9, v7
	v_sub_u32_e32 v12, v14, v12
	v_or_b32_e32 v8, 0.5, v8
	v_lshlrev_b32_e32 v13, 23, v13
	v_or_b32_e32 v7, v12, v7
	v_lshrrev_b32_e32 v12, 9, v15
	v_sub_u32_e32 v8, v8, v13
	v_or_b32_e32 v8, v12, v8
	s_mov_b32 s0, 0x3fc90fda
	v_mul_f32_e32 v12, 0x3fc90fda, v8
	v_fma_f32 v13, v8, s0, -v12
	v_fmac_f32_e32 v13, 0x33a22168, v8
	v_fmac_f32_e32 v13, 0x3fc90fda, v7
	v_lshrrev_b32_e32 v6, 30, v6
	v_add_f32_e32 v13, v12, v13
	v_add_u32_e32 v12, v19, v6
	s_andn2_saveexec_b64 s[0:1], s[8:9]
	s_cbranch_execnz .LBB0_8
	s_branch .LBB0_9
.LBB0_7:
	s_andn2_saveexec_b64 s[0:1], s[8:9]
	s_cbranch_execz .LBB0_9
.LBB0_8:
	s_mov_b32 s2, 0x3f22f983
	v_mul_f32_e64 v6, |v0|, s2
	v_rndne_f32_e32 v6, v6
	s_mov_b32 s2, 0xbfc90fda
	v_cvt_i32_f32_e32 v12, v6
	v_fma_f32 v13, v6, s2, |v0|
	v_fmac_f32_e32 v13, 0xb3a22168, v6
	v_fmac_f32_e32 v13, 0xa7c234c4, v6
.LBB0_9:
	s_or_b64 exec, exec, s[0:1]
	v_mul_f32_e32 v14, 0x3c8efa35, v2
	v_and_b32_e32 v8, 0x7fffffff, v14
	s_brev_b32 s0, 18
	v_cmp_nlt_f32_e64 s[8:9], |v14|, s0
	v_lshrrev_b32_e32 v2, 23, v8
                                        ; implicit-def: $vgpr15
                                        ; implicit-def: $vgpr16
	s_and_saveexec_b64 s[0:1], s[8:9]
	s_xor_b64 s[10:11], exec, s[0:1]
	s_cbranch_execz .LBB0_11
; %bb.10:
	v_and_b32_e32 v6, 0x7fffff, v8
	v_or_b32_e32 v23, 0x800000, v6
	s_mov_b32 s0, 0xfe5163ab
	v_mad_u64_u32 v[6:7], s[0:1], v23, s0, 0
	v_mov_b32_e32 v16, 0
	s_mov_b32 s0, 0x3c439041
	v_mov_b32_e32 v15, v7
	v_mad_u64_u32 v[17:18], s[0:1], v23, s0, v[15:16]
	s_mov_b32 s0, 0xdb629599
	v_add_u32_e32 v7, 0xffffff88, v2
	v_mov_b32_e32 v15, v18
	v_mad_u64_u32 v[18:19], s[0:1], v23, s0, v[15:16]
	s_mov_b32 s0, 0xf534ddc0
	v_not_b32_e32 v22, 63
	v_mov_b32_e32 v15, v19
	v_mad_u64_u32 v[19:20], s[0:1], v23, s0, v[15:16]
	s_mov_b32 s0, 0xfc2757d1
	v_cmp_lt_u32_e32 vcc, 63, v7
	v_mov_b32_e32 v15, v20
	v_mad_u64_u32 v[20:21], s[0:1], v23, s0, v[15:16]
	v_cndmask_b32_e32 v15, 0, v22, vcc
	v_add_u32_e32 v7, v15, v7
	v_mov_b32_e32 v15, v21
	s_mov_b32 s0, 0x4e441529
	v_mad_u64_u32 v[21:22], s[0:1], v23, s0, v[15:16]
	v_not_b32_e32 v24, 31
	v_cmp_lt_u32_e64 s[0:1], 31, v7
	v_cndmask_b32_e64 v15, 0, v24, s[0:1]
	v_add_u32_e32 v7, v15, v7
	v_mov_b32_e32 v15, v22
	s_mov_b32 s2, 0xa2f9836e
	v_mad_u64_u32 v[15:16], s[2:3], v23, s2, v[15:16]
	v_cmp_lt_u32_e64 s[2:3], 31, v7
	v_cndmask_b32_e64 v22, 0, v24, s[2:3]
	v_add_u32_e32 v7, v22, v7
	v_cndmask_b32_e32 v22, v21, v19, vcc
	v_cndmask_b32_e32 v15, v15, v20, vcc
	;; [unrolled: 1-line block ×3, first 2 shown]
	v_cndmask_b32_e64 v23, v15, v22, s[0:1]
	v_cndmask_b32_e64 v15, v16, v15, s[0:1]
	v_cndmask_b32_e32 v16, v20, v18, vcc
	v_cndmask_b32_e64 v20, v22, v16, s[0:1]
	v_cndmask_b32_e64 v15, v15, v23, s[2:3]
	;; [unrolled: 1-line block ×3, first 2 shown]
	v_sub_u32_e32 v22, 32, v7
	v_alignbit_b32 v23, v15, v21, v22
	v_cmp_eq_u32_e64 s[6:7], 0, v7
	v_cndmask_b32_e64 v7, v23, v15, s[6:7]
	v_cndmask_b32_e32 v15, v19, v17, vcc
	v_cndmask_b32_e64 v16, v16, v15, s[0:1]
	v_cndmask_b32_e64 v17, v20, v16, s[2:3]
	v_alignbit_b32 v19, v21, v17, v22
	v_cndmask_b32_e32 v6, v18, v6, vcc
	v_cndmask_b32_e64 v19, v19, v21, s[6:7]
	v_bfe_u32 v23, v7, 29, 1
	v_cndmask_b32_e64 v6, v15, v6, s[0:1]
	v_alignbit_b32 v20, v7, v19, 30
	v_sub_u32_e32 v24, 0, v23
	v_cndmask_b32_e64 v6, v16, v6, s[2:3]
	v_xor_b32_e32 v20, v20, v24
	v_alignbit_b32 v15, v17, v6, v22
	v_cndmask_b32_e64 v15, v15, v17, s[6:7]
	v_ffbh_u32_e32 v17, v20
	v_alignbit_b32 v16, v19, v15, 30
	v_min_u32_e32 v17, 32, v17
	v_alignbit_b32 v6, v15, v6, 30
	v_xor_b32_e32 v16, v16, v24
	v_sub_u32_e32 v18, 31, v17
	v_xor_b32_e32 v6, v6, v24
	v_alignbit_b32 v19, v20, v16, v18
	v_alignbit_b32 v6, v16, v6, v18
	;; [unrolled: 1-line block ×3, first 2 shown]
	v_ffbh_u32_e32 v16, v15
	v_min_u32_e32 v16, 32, v16
	v_lshrrev_b32_e32 v21, 29, v7
	v_not_b32_e32 v18, v16
	v_alignbit_b32 v6, v15, v6, v18
	v_lshlrev_b32_e32 v15, 31, v21
	v_or_b32_e32 v18, 0x33000000, v15
	v_add_lshl_u32 v16, v16, v17, 23
	v_lshrrev_b32_e32 v6, 9, v6
	v_sub_u32_e32 v16, v18, v16
	v_or_b32_e32 v15, 0.5, v15
	v_lshlrev_b32_e32 v17, 23, v17
	v_or_b32_e32 v6, v16, v6
	v_lshrrev_b32_e32 v16, 9, v19
	v_sub_u32_e32 v15, v15, v17
	v_or_b32_e32 v15, v16, v15
	s_mov_b32 s0, 0x3fc90fda
	v_mul_f32_e32 v16, 0x3fc90fda, v15
	v_fma_f32 v17, v15, s0, -v16
	v_fmac_f32_e32 v17, 0x33a22168, v15
	v_fmac_f32_e32 v17, 0x3fc90fda, v6
	v_lshrrev_b32_e32 v6, 30, v7
	v_add_f32_e32 v16, v16, v17
	v_add_u32_e32 v15, v23, v6
	s_andn2_saveexec_b64 s[0:1], s[10:11]
	s_cbranch_execz .LBB0_13
	s_branch .LBB0_12
.LBB0_11:
	s_andn2_saveexec_b64 s[0:1], s[10:11]
	s_cbranch_execz .LBB0_13
.LBB0_12:
	s_mov_b32 s2, 0x3f22f983
	v_mul_f32_e64 v6, |v14|, s2
	v_rndne_f32_e32 v6, v6
	s_mov_b32 s2, 0xbfc90fda
	v_cvt_i32_f32_e32 v15, v6
	v_fma_f32 v16, v6, s2, |v14|
	v_fmac_f32_e32 v16, 0xb3a22168, v6
	v_fmac_f32_e32 v16, 0xa7c234c4, v6
.LBB0_13:
	s_or_b64 exec, exec, s[0:1]
                                        ; implicit-def: $vgpr17
                                        ; implicit-def: $vgpr18
	s_and_saveexec_b64 s[0:1], s[8:9]
	s_xor_b64 s[8:9], exec, s[0:1]
	s_cbranch_execz .LBB0_15
; %bb.14:
	v_and_b32_e32 v6, 0x7fffff, v8
	v_or_b32_e32 v25, 0x800000, v6
	s_mov_b32 s0, 0xfe5163ab
	v_mad_u64_u32 v[6:7], s[0:1], v25, s0, 0
	v_mov_b32_e32 v18, 0
	s_mov_b32 s0, 0x3c439041
	v_mov_b32_e32 v17, v7
	v_mad_u64_u32 v[19:20], s[0:1], v25, s0, v[17:18]
	s_mov_b32 s0, 0xdb629599
	v_add_u32_e32 v2, 0xffffff88, v2
	v_mov_b32_e32 v17, v20
	v_mad_u64_u32 v[20:21], s[0:1], v25, s0, v[17:18]
	s_mov_b32 s0, 0xf534ddc0
	v_not_b32_e32 v7, 63
	v_mov_b32_e32 v17, v21
	v_mad_u64_u32 v[21:22], s[0:1], v25, s0, v[17:18]
	s_mov_b32 s0, 0xfc2757d1
	v_cmp_lt_u32_e32 vcc, 63, v2
	v_mov_b32_e32 v17, v22
	v_mad_u64_u32 v[22:23], s[0:1], v25, s0, v[17:18]
	s_mov_b32 s0, 0x4e441529
	v_cndmask_b32_e32 v7, 0, v7, vcc
	v_mov_b32_e32 v17, v23
	v_mad_u64_u32 v[23:24], s[0:1], v25, s0, v[17:18]
	v_add_u32_e32 v2, v7, v2
	v_not_b32_e32 v7, 31
	v_cmp_lt_u32_e64 s[0:1], 31, v2
	v_cndmask_b32_e64 v17, 0, v7, s[0:1]
	v_add_u32_e32 v2, v17, v2
	v_mov_b32_e32 v17, v24
	s_mov_b32 s2, 0xa2f9836e
	v_mad_u64_u32 v[17:18], s[2:3], v25, s2, v[17:18]
	v_cmp_lt_u32_e64 s[2:3], 31, v2
	v_cndmask_b32_e64 v7, 0, v7, s[2:3]
	v_add_u32_e32 v2, v7, v2
	v_cndmask_b32_e32 v7, v23, v21, vcc
	v_cndmask_b32_e32 v17, v17, v22, vcc
	;; [unrolled: 1-line block ×3, first 2 shown]
	v_cndmask_b32_e64 v24, v17, v7, s[0:1]
	v_cndmask_b32_e64 v17, v18, v17, s[0:1]
	v_cndmask_b32_e32 v18, v22, v20, vcc
	v_cndmask_b32_e64 v7, v7, v18, s[0:1]
	v_cndmask_b32_e64 v17, v17, v24, s[2:3]
	;; [unrolled: 1-line block ×3, first 2 shown]
	v_sub_u32_e32 v23, 32, v2
	v_alignbit_b32 v24, v17, v22, v23
	v_cmp_eq_u32_e64 s[6:7], 0, v2
	v_cndmask_b32_e64 v2, v24, v17, s[6:7]
	v_cndmask_b32_e32 v17, v21, v19, vcc
	v_cndmask_b32_e64 v18, v18, v17, s[0:1]
	v_cndmask_b32_e64 v7, v7, v18, s[2:3]
	v_alignbit_b32 v19, v22, v7, v23
	v_cndmask_b32_e32 v6, v20, v6, vcc
	v_cndmask_b32_e64 v19, v19, v22, s[6:7]
	v_bfe_u32 v24, v2, 29, 1
	v_cndmask_b32_e64 v6, v17, v6, s[0:1]
	v_alignbit_b32 v21, v2, v19, 30
	v_sub_u32_e32 v25, 0, v24
	v_cndmask_b32_e64 v6, v18, v6, s[2:3]
	v_xor_b32_e32 v21, v21, v25
	v_alignbit_b32 v17, v7, v6, v23
	v_cndmask_b32_e64 v7, v17, v7, s[6:7]
	v_ffbh_u32_e32 v18, v21
	v_alignbit_b32 v17, v19, v7, 30
	v_min_u32_e32 v18, 32, v18
	v_alignbit_b32 v6, v7, v6, 30
	v_xor_b32_e32 v17, v17, v25
	v_sub_u32_e32 v19, 31, v18
	v_xor_b32_e32 v6, v6, v25
	v_alignbit_b32 v20, v21, v17, v19
	v_alignbit_b32 v6, v17, v6, v19
	;; [unrolled: 1-line block ×3, first 2 shown]
	v_ffbh_u32_e32 v17, v7
	v_min_u32_e32 v17, 32, v17
	v_lshrrev_b32_e32 v22, 29, v2
	v_not_b32_e32 v19, v17
	v_alignbit_b32 v6, v7, v6, v19
	v_lshlrev_b32_e32 v7, 31, v22
	v_or_b32_e32 v19, 0x33000000, v7
	v_add_lshl_u32 v17, v17, v18, 23
	v_lshrrev_b32_e32 v6, 9, v6
	v_sub_u32_e32 v17, v19, v17
	v_or_b32_e32 v7, 0.5, v7
	v_lshlrev_b32_e32 v18, 23, v18
	v_or_b32_e32 v6, v17, v6
	v_lshrrev_b32_e32 v17, 9, v20
	v_sub_u32_e32 v7, v7, v18
	v_or_b32_e32 v7, v17, v7
	s_mov_b32 s0, 0x3fc90fda
	v_mul_f32_e32 v17, 0x3fc90fda, v7
	v_fma_f32 v18, v7, s0, -v17
	v_fmac_f32_e32 v18, 0x33a22168, v7
	v_fmac_f32_e32 v18, 0x3fc90fda, v6
	v_lshrrev_b32_e32 v2, 30, v2
	v_add_f32_e32 v18, v17, v18
	v_add_u32_e32 v17, v24, v2
	s_or_saveexec_b64 s[0:1], s[8:9]
	s_load_dwordx2 s[6:7], s[4:5], 0x8
	s_xor_b64 exec, exec, s[0:1]
	s_cbranch_execnz .LBB0_16
	s_branch .LBB0_17
.LBB0_15:
	s_or_saveexec_b64 s[0:1], s[8:9]
	s_load_dwordx2 s[6:7], s[4:5], 0x8
	s_xor_b64 exec, exec, s[0:1]
	s_cbranch_execz .LBB0_17
.LBB0_16:
	s_mov_b32 s2, 0x3f22f983
	v_mul_f32_e64 v2, |v14|, s2
	v_rndne_f32_e32 v2, v2
	s_mov_b32 s2, 0xbfc90fda
	v_cvt_i32_f32_e32 v17, v2
	v_fma_f32 v18, v2, s2, |v14|
	v_fmac_f32_e32 v18, 0xb3a22168, v2
	v_fmac_f32_e32 v18, 0xa7c234c4, v2
.LBB0_17:
	s_or_b64 exec, exec, s[0:1]
	v_mul_f32_e32 v19, v16, v16
	v_mov_b32_e32 v6, 0x3c0881c4
	v_fmac_f32_e32 v6, 0xb94c1982, v19
	v_mov_b32_e32 v2, 0xbe2aaa9d
	v_fma_f32 v6, v19, v6, v2
	v_mul_f32_e32 v6, v19, v6
	v_mov_b32_e32 v7, 0xbab64f3b
	v_fmac_f32_e32 v16, v16, v6
	v_fmac_f32_e32 v7, 0x37d75334, v19
	v_mov_b32_e32 v6, 0x3d2aabf7
	v_fma_f32 v22, v19, v7, v6
	v_mov_b32_e32 v7, 0xbf000004
	v_fma_f32 v22, v19, v22, v7
	v_fma_f32 v19, v19, v22, 1.0
	v_and_b32_e32 v22, 1, v15
	v_lshlrev_b32_e32 v15, 30, v15
	v_cmp_eq_u32_e32 vcc, 0, v22
	v_and_b32_e32 v15, 0x80000000, v15
	v_xor_b32_e32 v8, v8, v14
	v_cndmask_b32_e32 v16, v19, v16, vcc
	v_xor_b32_e32 v8, v8, v15
	v_xor_b32_e32 v8, v8, v16
	s_movk_i32 s14, 0x1f8
	v_mul_f32_e32 v15, 0x3f7f2445, v8
	v_mov_b32_e32 v8, 0x7fc00000
	v_cmp_class_f32_e64 vcc, v14, s14
	v_cndmask_b32_e32 v14, v8, v15, vcc
	v_mul_f32_e32 v15, v11, v11
	v_mov_b32_e32 v16, 0x3c0881c4
	v_fmac_f32_e32 v16, 0xb94c1982, v15
	v_fma_f32 v16, v15, v16, v2
	v_mul_f32_e32 v16, v15, v16
	v_fmac_f32_e32 v11, v11, v16
	v_mov_b32_e32 v16, 0xbab64f3b
	v_fmac_f32_e32 v16, 0x37d75334, v15
	v_fma_f32 v16, v15, v16, v6
	v_fma_f32 v16, v15, v16, v7
	v_fma_f32 v15, v15, v16, 1.0
	v_and_b32_e32 v16, 1, v10
	v_lshlrev_b32_e32 v10, 30, v10
	v_cmp_eq_u32_e64 s[0:1], 0, v16
	v_and_b32_e32 v10, 0x80000000, v10
	v_xor_b32_e32 v9, v9, v0
	v_cndmask_b32_e64 v11, v15, v11, s[0:1]
	v_xor_b32_e32 v9, v9, v10
	v_xor_b32_e32 v9, v9, v11
	v_mul_f32_e32 v9, 0x3f7f2445, v9
	v_cmp_class_f32_e64 s[0:1], v0, s14
	v_cndmask_b32_e64 v0, v8, v9, s[0:1]
	v_mul_f32_e32 v9, v13, v13
	v_mov_b32_e32 v10, 0x3c0881c4
	v_fmac_f32_e32 v10, 0xb94c1982, v9
	v_fma_f32 v10, v9, v10, v2
	v_mul_f32_e32 v10, v9, v10
	v_fmac_f32_e32 v13, v13, v10
	v_mov_b32_e32 v10, 0xbab64f3b
	v_fmac_f32_e32 v10, 0x37d75334, v9
	v_fma_f32 v10, v9, v10, v6
	v_fma_f32 v10, v9, v10, v7
	v_fma_f32 v9, v9, v10, 1.0
	v_and_b32_e32 v10, 1, v12
	v_cmp_eq_u32_e64 s[2:3], 0, v10
	v_lshlrev_b32_e32 v10, 30, v12
	v_cndmask_b32_e64 v9, -v13, v9, s[2:3]
	v_and_b32_e32 v10, 0x80000000, v10
	v_mov_b32_e32 v20, 0x3c0881c4
	v_xor_b32_e32 v9, v10, v9
	v_mul_f32_e32 v12, v18, v18
	v_cndmask_b32_e64 v9, v8, v9, s[0:1]
	v_fmac_f32_e32 v20, 0xb94c1982, v12
	v_mov_b32_e32 v21, 0xbab64f3b
	v_div_scale_f32 v10, s[0:1], v9, v9, v0
	v_fma_f32 v13, v12, v20, v2
	v_mul_f32_e32 v13, v12, v13
	v_fmac_f32_e32 v21, 0x37d75334, v12
	v_fmac_f32_e32 v18, v18, v13
	v_fma_f32 v13, v12, v21, v6
	v_fma_f32 v13, v12, v13, v7
	v_fma_f32 v12, v12, v13, 1.0
	v_and_b32_e32 v13, 1, v17
	v_cmp_eq_u32_e64 s[2:3], 0, v13
	v_lshlrev_b32_e32 v13, 30, v17
	v_div_scale_f32 v11, s[0:1], v0, v9, v0
	v_cndmask_b32_e64 v12, -v18, v12, s[2:3]
	v_and_b32_e32 v13, 0x80000000, v13
	v_xor_b32_e32 v12, v13, v12
	v_cndmask_b32_e32 v12, v8, v12, vcc
	v_div_scale_f32 v13, s[2:3], v12, v12, v14
	v_div_scale_f32 v16, s[2:3], v14, v12, v14
	v_rcp_f32_e32 v15, v10
	s_mov_b64 vcc, s[0:1]
	s_mov_b32 s15, 0xf800000
	s_mov_b64 s[8:9], 0
	v_fma_f32 v17, -v10, v15, 1.0
	v_fmac_f32_e32 v15, v17, v15
	v_mul_f32_e32 v17, v11, v15
	v_fma_f32 v18, -v10, v17, v11
	v_fmac_f32_e32 v17, v18, v15
	v_fma_f32 v10, -v10, v17, v11
	v_div_fmas_f32 v10, v10, v15, v17
	s_mov_b64 vcc, s[2:3]
	v_rcp_f32_e32 v11, v13
	s_brev_b32 s16, -2
	s_brev_b32 s17, 18
	s_mov_b32 s18, 0xfe5163ab
	v_fma_f32 v15, -v13, v11, 1.0
	v_fmac_f32_e32 v11, v15, v11
	v_mul_f32_e32 v15, v16, v11
	v_fma_f32 v17, -v13, v15, v16
	v_fmac_f32_e32 v15, v17, v11
	v_fma_f32 v13, -v13, v15, v16
	v_div_fmas_f32 v11, v13, v11, v15
	s_mov_b32 s19, 0x3c439041
	s_mov_b32 s20, 0xdb629599
	;; [unrolled: 1-line block ×3, first 2 shown]
	v_div_fixup_f32 v0, v10, v9, v0
	v_fma_f32 v9, v0, v0, 1.0
	v_mul_f32_e32 v10, 0x4f800000, v9
	v_cmp_gt_f32_e32 vcc, s15, v9
	v_cndmask_b32_e32 v10, v9, v10, vcc
	v_sqrt_f32_e32 v9, v10
	s_mov_b32 s22, 0xfc2757d1
	s_mov_b32 s23, 0x4e441529
	s_mov_b32 s24, 0xa2f9836e
	s_mov_b32 s25, 0x3fc90fda
	s_mov_b32 s26, 0x3f22f983
	s_mov_b32 s27, 0xbfc90fda
	v_div_fixup_f32 v14, v11, v12, v14
	v_add_u32_e32 v11, -1, v9
	v_fma_f32 v12, -v11, v9, v10
	v_cmp_ge_f32_e64 s[0:1], 0, v12
	v_add_u32_e32 v12, 1, v9
	v_cndmask_b32_e64 v11, v9, v11, s[0:1]
	v_fma_f32 v9, -v12, v9, v10
	v_cmp_lt_f32_e64 s[0:1], 0, v9
	v_cndmask_b32_e64 v9, v11, v12, s[0:1]
	v_mul_f32_e32 v11, 0x37800000, v9
	v_cndmask_b32_e32 v11, v9, v11, vcc
	v_mov_b32_e32 v9, 0x260
	v_cmp_class_f32_e32 vcc, v10, v9
	v_cndmask_b32_e32 v12, v11, v10, vcc
	v_fma_f32 v10, v14, v14, 1.0
	v_mul_f32_e32 v11, 0x4f800000, v10
	v_cmp_gt_f32_e32 vcc, s15, v10
	v_cndmask_b32_e32 v10, v10, v11, vcc
	v_sqrt_f32_e32 v11, v10
	v_div_scale_f32 v13, s[0:1], v12, v12, 1.0
	v_div_scale_f32 v15, s[0:1], 1.0, v12, 1.0
	v_add_u32_e32 v16, -1, v11
	v_fma_f32 v17, -v16, v11, v10
	v_cmp_ge_f32_e64 s[2:3], 0, v17
	v_add_u32_e32 v17, 1, v11
	v_cndmask_b32_e64 v16, v11, v16, s[2:3]
	v_fma_f32 v11, -v17, v11, v10
	v_cmp_lt_f32_e64 s[2:3], 0, v11
	v_cndmask_b32_e64 v11, v16, v17, s[2:3]
	v_mul_f32_e32 v16, 0x37800000, v11
	v_cndmask_b32_e32 v11, v11, v16, vcc
	v_cmp_class_f32_e32 vcc, v10, v9
	v_cndmask_b32_e32 v16, v11, v10, vcc
	v_div_scale_f32 v10, s[2:3], v16, v16, 1.0
	v_div_scale_f32 v11, s[2:3], 1.0, v16, 1.0
	v_rcp_f32_e32 v17, v13
	s_mov_b64 vcc, s[0:1]
	s_mov_b32 s0, 0x3c8efa35
	s_movk_i32 s28, 0x204
	v_fma_f32 v18, -v13, v17, 1.0
	v_fmac_f32_e32 v17, v18, v17
	v_mul_f32_e32 v18, v15, v17
	v_fma_f32 v19, -v13, v18, v15
	v_fmac_f32_e32 v18, v19, v17
	v_fma_f32 v13, -v13, v18, v15
	v_div_fmas_f32 v13, v13, v17, v18
	s_mov_b64 vcc, s[2:3]
	v_rcp_f32_e32 v19, v10
	s_mov_b32 s29, 0xc0400000
	s_mov_b32 s30, 0x3b5bbad4
	;; [unrolled: 1-line block ×3, first 2 shown]
	v_fma_f32 v15, -v10, v19, 1.0
	v_fmac_f32_e32 v19, v15, v19
	v_mul_f32_e32 v15, v11, v19
	v_fma_f32 v17, -v10, v15, v11
	v_fmac_f32_e32 v15, v17, v19
	v_fma_f32 v10, -v10, v15, v11
	v_div_fmas_f32 v15, v10, v19, v15
	v_mul_f32_e32 v10, 0x3c8efa35, v1
	v_mul_f32_e32 v11, 0x3c8efa35, v3
	v_fma_f32 v17, v3, s0, -v10
	v_div_fixup_f32 v1, v13, v12, 1.0
	v_mul_f32_e32 v18, v0, v1
	v_mov_b32_e32 v19, 0xbeaaaa62
	s_mov_b32 s33, 0x36a7c5ac
	v_not_b32_e32 v20, 63
	v_not_b32_e32 v21, 31
	v_mov_b32_e32 v22, 0x40490fdb
	v_mov_b32_e32 v23, 0x3f490fdb
	;; [unrolled: 1-line block ×3, first 2 shown]
	v_div_fixup_f32 v12, v15, v16, 1.0
	v_mul_f32_e32 v13, v1, v12
	v_mul_f32_e32 v14, v14, v13
	;; [unrolled: 1-line block ×4, first 2 shown]
	v_add_f32_e32 v16, v15, v15
	v_mov_b32_e32 v18, 0x3e4cb8bf
	v_mov_b32_e32 v1, 0
	s_branch .LBB0_19
.LBB0_18:                               ;   in Loop: Header=BB0_19 Depth=1
	s_or_b64 exec, exec, s[0:1]
	v_max_f32_e64 v29, |v0|, |v0|
	v_max_f32_e64 v31, |v27|, |v27|
	v_min_f32_e32 v32, v31, v29
	v_max_f32_e32 v29, v31, v29
	v_frexp_mant_f32_e32 v31, v29
	v_rcp_f32_e32 v31, v31
	v_frexp_exp_i32_f32_e32 v29, v29
	v_frexp_exp_i32_f32_e32 v33, v32
	v_frexp_mant_f32_e32 v32, v32
	v_mul_f32_e32 v31, v32, v31
	v_sub_u32_e32 v29, v33, v29
	v_ldexp_f32 v29, v31, v29
	v_mul_f32_e32 v31, v29, v29
	v_mov_b32_e32 v32, 0xbc7a590c
	v_fmac_f32_e32 v32, 0x3b2d2a58, v31
	v_mov_b32_e32 v33, 0x3d29fb3f
	v_fma_f32 v32, v31, v32, v33
	v_mov_b32_e32 v33, 0xbd97d4d7
	v_fma_f32 v32, v31, v32, v33
	;; [unrolled: 2-line block ×4, first 2 shown]
	v_fma_f32 v32, v31, v32, v18
	v_fma_f32 v32, v31, v32, v19
	v_mul_f32_e32 v31, v31, v32
	v_fmac_f32_e32 v29, v29, v31
	v_sub_f32_e32 v31, 0x3fc90fdb, v29
	v_cmp_gt_f32_e64 vcc, |v0|, |v27|
	v_cndmask_b32_e32 v29, v29, v31, vcc
	v_sub_f32_e32 v31, 0x40490fdb, v29
	v_cmp_gt_f32_e32 vcc, 0, v27
	v_cmp_gt_i32_e64 s[0:1], 0, v27
	v_cndmask_b32_e32 v29, v29, v31, vcc
	v_cndmask_b32_e64 v31, 0, v22, s[0:1]
	v_cmp_eq_f32_e64 s[0:1], 0, v26
	v_cndmask_b32_e64 v26, v29, v31, s[0:1]
	v_cmp_class_f32_e64 s[0:1], v27, s28
	v_cmp_class_f32_e64 s[2:3], v0, s28
	v_fma_f32 v31, v28, s29, 4.0
	v_cndmask_b32_e32 v29, v23, v24, vcc
	s_and_b64 vcc, s[0:1], s[2:3]
	v_fma_f32 v31, v31, s30, 4.0
	v_cndmask_b32_e32 v26, v26, v29, vcc
	v_mul_f32_e32 v29, v25, v25
	v_mul_f32_e32 v31, v28, v31
	v_fma_f32 v29, v29, 2.0, -1.0
	v_mul_f32_e32 v31, 0x3b5bbad4, v31
	v_cmp_o_f32_e32 vcc, v27, v0
	v_mul_f32_e32 v32, 0x3d800000, v31
	v_mul_f32_e32 v27, v27, v29
	v_cndmask_b32_e32 v26, v8, v26, vcc
	v_fma_f32 v33, v32, v27, v25
	v_bfi_b32 v26, s16, v26, v0
	v_mul_f32_e32 v33, v0, v33
	v_fma_f32 v32, v32, v33, v26
	v_mul_f32_e32 v30, v30, v32
	v_fma_f32 v31, v31, s31, 1.0
	v_mul_f32_e32 v30, v31, v30
	v_mov_b32_e32 v31, v11
	v_fmac_f32_e32 v31, 0x3b5bbad4, v30
	v_sub_f32_e32 v30, v31, v10
	v_sub_f32_e32 v17, v17, v30
	v_cmp_ngt_f32_e64 s[0:1], |v17|, s33
	s_or_b64 s[8:9], s[0:1], s[8:9]
	v_mov_b32_e32 v17, v30
	s_andn2_b64 exec, exec, s[8:9]
	s_cbranch_execz .LBB0_29
.LBB0_19:                               ; =>This Inner Loop Header: Depth=1
	v_and_b32_e32 v25, 0x7fffffff, v17
	v_lshrrev_b32_e32 v0, 23, v25
	v_and_b32_e32 v26, 0x7fffff, v25
	v_cmp_nlt_f32_e64 s[10:11], |v17|, s17
	v_add_u32_e32 v29, 0xffffff88, v0
	v_or_b32_e32 v27, 0x800000, v26
                                        ; implicit-def: $vgpr26
                                        ; implicit-def: $vgpr28
	s_and_saveexec_b64 s[0:1], s[10:11]
	s_xor_b64 s[12:13], exec, s[0:1]
	s_cbranch_execz .LBB0_21
; %bb.20:                               ;   in Loop: Header=BB0_19 Depth=1
	v_mad_u64_u32 v[30:31], s[0:1], v27, s18, 0
	v_cmp_lt_u32_e32 vcc, 63, v29
	v_mov_b32_e32 v0, v31
	v_mad_u64_u32 v[31:32], s[0:1], v27, s19, v[0:1]
	v_mov_b32_e32 v0, v32
	v_mad_u64_u32 v[32:33], s[0:1], v27, s20, v[0:1]
	;; [unrolled: 2-line block ×3, first 2 shown]
	v_cndmask_b32_e32 v0, 0, v20, vcc
	v_add_u32_e32 v26, v0, v29
	v_mov_b32_e32 v0, v34
	v_mad_u64_u32 v[34:35], s[0:1], v27, s22, v[0:1]
	v_cmp_lt_u32_e64 s[0:1], 31, v26
	v_cndmask_b32_e64 v0, 0, v21, s[0:1]
	v_add_u32_e32 v26, v0, v26
	v_mov_b32_e32 v0, v35
	v_mad_u64_u32 v[35:36], s[2:3], v27, s23, v[0:1]
	v_cmp_lt_u32_e64 s[2:3], 31, v26
	v_cndmask_b32_e64 v0, 0, v21, s[2:3]
	v_add_u32_e32 v26, v0, v26
	v_mov_b32_e32 v0, v36
	v_mad_u64_u32 v[36:37], s[4:5], v27, s24, v[0:1]
	v_cndmask_b32_e32 v0, v34, v32, vcc
	v_cndmask_b32_e32 v28, v35, v33, vcc
	;; [unrolled: 1-line block ×4, first 2 shown]
	v_cndmask_b32_e64 v38, v28, v0, s[0:1]
	v_cndmask_b32_e64 v28, v34, v28, s[0:1]
	;; [unrolled: 1-line block ×3, first 2 shown]
	v_cndmask_b32_e32 v31, v33, v31, vcc
	v_cndmask_b32_e64 v34, v34, v28, s[2:3]
	v_cndmask_b32_e64 v28, v28, v38, s[2:3]
	v_sub_u32_e32 v35, 32, v26
	v_cndmask_b32_e64 v0, v0, v31, s[0:1]
	v_alignbit_b32 v36, v34, v28, v35
	v_cmp_eq_u32_e64 s[4:5], 0, v26
	v_cndmask_b32_e64 v33, v38, v0, s[2:3]
	v_cndmask_b32_e64 v26, v36, v34, s[4:5]
	v_alignbit_b32 v34, v28, v33, v35
	v_cndmask_b32_e32 v30, v32, v30, vcc
	v_cndmask_b32_e64 v28, v34, v28, s[4:5]
	v_bfe_u32 v37, v26, 29, 1
	v_cndmask_b32_e64 v30, v31, v30, s[0:1]
	v_alignbit_b32 v34, v26, v28, 30
	v_sub_u32_e32 v38, 0, v37
	v_cndmask_b32_e64 v0, v0, v30, s[2:3]
	v_xor_b32_e32 v34, v34, v38
	v_alignbit_b32 v30, v33, v0, v35
	v_cndmask_b32_e64 v30, v30, v33, s[4:5]
	v_ffbh_u32_e32 v31, v34
	v_alignbit_b32 v28, v28, v30, 30
	v_min_u32_e32 v31, 32, v31
	v_alignbit_b32 v0, v30, v0, 30
	v_xor_b32_e32 v28, v28, v38
	v_sub_u32_e32 v32, 31, v31
	v_xor_b32_e32 v0, v0, v38
	v_alignbit_b32 v33, v34, v28, v32
	v_alignbit_b32 v0, v28, v0, v32
	;; [unrolled: 1-line block ×3, first 2 shown]
	v_ffbh_u32_e32 v30, v28
	v_min_u32_e32 v30, 32, v30
	v_lshrrev_b32_e32 v36, 29, v26
	v_not_b32_e32 v32, v30
	v_alignbit_b32 v0, v28, v0, v32
	v_lshlrev_b32_e32 v28, 31, v36
	v_or_b32_e32 v32, 0x33000000, v28
	v_add_lshl_u32 v30, v30, v31, 23
	v_lshrrev_b32_e32 v0, 9, v0
	v_sub_u32_e32 v30, v32, v30
	v_or_b32_e32 v28, 0.5, v28
	v_lshlrev_b32_e32 v31, 23, v31
	v_or_b32_e32 v0, v30, v0
	v_lshrrev_b32_e32 v30, 9, v33
	v_sub_u32_e32 v28, v28, v31
	v_or_b32_e32 v28, v30, v28
	v_mul_f32_e32 v30, 0x3fc90fda, v28
	v_fma_f32 v31, v28, s25, -v30
	v_fmac_f32_e32 v31, 0x33a22168, v28
	v_fmac_f32_e32 v31, 0x3fc90fda, v0
	v_lshrrev_b32_e32 v0, 30, v26
	v_add_f32_e32 v28, v30, v31
	v_add_u32_e32 v26, v37, v0
.LBB0_21:                               ;   in Loop: Header=BB0_19 Depth=1
	s_or_saveexec_b64 s[0:1], s[12:13]
	v_mul_f32_e64 v0, |v17|, s26
	v_rndne_f32_e32 v31, v0
	s_xor_b64 exec, exec, s[0:1]
; %bb.22:                               ;   in Loop: Header=BB0_19 Depth=1
	v_cvt_i32_f32_e32 v26, v31
	v_fma_f32 v28, v31, s27, |v17|
	v_fmac_f32_e32 v28, 0xb3a22168, v31
	v_fmac_f32_e32 v28, 0xa7c234c4, v31
; %bb.23:                               ;   in Loop: Header=BB0_19 Depth=1
	s_or_b64 exec, exec, s[0:1]
                                        ; implicit-def: $vgpr0
                                        ; implicit-def: $vgpr30
	s_and_saveexec_b64 s[0:1], s[10:11]
	s_xor_b64 s[10:11], exec, s[0:1]
	s_cbranch_execz .LBB0_25
; %bb.24:                               ;   in Loop: Header=BB0_19 Depth=1
	v_mad_u64_u32 v[30:31], s[0:1], v27, s18, 0
	v_cmp_lt_u32_e32 vcc, 63, v29
	v_mov_b32_e32 v0, v31
	v_mad_u64_u32 v[31:32], s[0:1], v27, s19, v[0:1]
	v_mov_b32_e32 v0, v32
	v_mad_u64_u32 v[32:33], s[0:1], v27, s20, v[0:1]
	v_mov_b32_e32 v0, v33
	v_mad_u64_u32 v[33:34], s[0:1], v27, s21, v[0:1]
	v_cndmask_b32_e32 v0, 0, v20, vcc
	v_add_u32_e32 v29, v0, v29
	v_mov_b32_e32 v0, v34
	v_mad_u64_u32 v[34:35], s[0:1], v27, s22, v[0:1]
	v_cmp_lt_u32_e64 s[0:1], 31, v29
	v_cndmask_b32_e64 v0, 0, v21, s[0:1]
	v_add_u32_e32 v29, v0, v29
	v_mov_b32_e32 v0, v35
	v_mad_u64_u32 v[35:36], s[2:3], v27, s23, v[0:1]
	v_cmp_lt_u32_e64 s[2:3], 31, v29
	v_cndmask_b32_e64 v0, 0, v21, s[2:3]
	v_add_u32_e32 v29, v0, v29
	v_mov_b32_e32 v0, v36
	v_mad_u64_u32 v[36:37], s[4:5], v27, s24, v[0:1]
	v_cndmask_b32_e32 v0, v34, v32, vcc
	v_cndmask_b32_e32 v27, v35, v33, vcc
	;; [unrolled: 1-line block ×4, first 2 shown]
	v_cndmask_b32_e64 v38, v27, v0, s[0:1]
	v_cndmask_b32_e64 v27, v34, v27, s[0:1]
	v_cndmask_b32_e64 v34, v35, v34, s[0:1]
	v_cndmask_b32_e32 v31, v33, v31, vcc
	v_cndmask_b32_e64 v34, v34, v27, s[2:3]
	v_cndmask_b32_e64 v27, v27, v38, s[2:3]
	v_sub_u32_e32 v35, 32, v29
	v_cndmask_b32_e64 v0, v0, v31, s[0:1]
	v_alignbit_b32 v36, v34, v27, v35
	v_cmp_eq_u32_e64 s[4:5], 0, v29
	v_cndmask_b32_e64 v33, v38, v0, s[2:3]
	v_cndmask_b32_e64 v29, v36, v34, s[4:5]
	v_alignbit_b32 v34, v27, v33, v35
	v_cndmask_b32_e32 v30, v32, v30, vcc
	v_cndmask_b32_e64 v27, v34, v27, s[4:5]
	v_bfe_u32 v37, v29, 29, 1
	v_cndmask_b32_e64 v30, v31, v30, s[0:1]
	v_alignbit_b32 v34, v29, v27, 30
	v_sub_u32_e32 v38, 0, v37
	v_cndmask_b32_e64 v0, v0, v30, s[2:3]
	v_xor_b32_e32 v34, v34, v38
	v_alignbit_b32 v30, v33, v0, v35
	v_cndmask_b32_e64 v30, v30, v33, s[4:5]
	v_ffbh_u32_e32 v31, v34
	v_alignbit_b32 v27, v27, v30, 30
	v_min_u32_e32 v31, 32, v31
	v_alignbit_b32 v0, v30, v0, 30
	v_xor_b32_e32 v27, v27, v38
	v_sub_u32_e32 v32, 31, v31
	v_xor_b32_e32 v0, v0, v38
	v_alignbit_b32 v33, v34, v27, v32
	v_alignbit_b32 v0, v27, v0, v32
	;; [unrolled: 1-line block ×3, first 2 shown]
	v_ffbh_u32_e32 v30, v27
	v_min_u32_e32 v30, 32, v30
	v_lshrrev_b32_e32 v36, 29, v29
	v_not_b32_e32 v32, v30
	v_alignbit_b32 v0, v27, v0, v32
	v_lshlrev_b32_e32 v27, 31, v36
	v_or_b32_e32 v32, 0x33000000, v27
	v_add_lshl_u32 v30, v30, v31, 23
	v_lshrrev_b32_e32 v0, 9, v0
	v_sub_u32_e32 v30, v32, v30
	v_or_b32_e32 v27, 0.5, v27
	v_lshlrev_b32_e32 v31, 23, v31
	v_or_b32_e32 v0, v30, v0
	v_lshrrev_b32_e32 v30, 9, v33
	v_sub_u32_e32 v27, v27, v31
	v_or_b32_e32 v27, v30, v27
	v_mul_f32_e32 v30, 0x3fc90fda, v27
	v_fma_f32 v31, v27, s25, -v30
	v_fmac_f32_e32 v31, 0x33a22168, v27
	v_fmac_f32_e32 v31, 0x3fc90fda, v0
	v_lshrrev_b32_e32 v0, 30, v29
	v_add_f32_e32 v30, v30, v31
	v_add_u32_e32 v0, v37, v0
                                        ; implicit-def: $vgpr31
	s_andn2_saveexec_b64 s[0:1], s[10:11]
	s_cbranch_execnz .LBB0_26
	s_branch .LBB0_27
.LBB0_25:                               ;   in Loop: Header=BB0_19 Depth=1
	s_andn2_saveexec_b64 s[0:1], s[10:11]
.LBB0_26:                               ;   in Loop: Header=BB0_19 Depth=1
	v_cvt_i32_f32_e32 v0, v31
	v_fma_f32 v30, v31, s27, |v17|
	v_fmac_f32_e32 v30, 0xb3a22168, v31
	v_fmac_f32_e32 v30, 0xa7c234c4, v31
.LBB0_27:                               ;   in Loop: Header=BB0_19 Depth=1
	s_or_b64 exec, exec, s[0:1]
	v_mul_f32_e32 v27, v28, v28
	v_mov_b32_e32 v29, 0x3c0881c4
	v_fmac_f32_e32 v29, 0xb94c1982, v27
	v_fma_f32 v29, v27, v29, v2
	v_mul_f32_e32 v29, v27, v29
	v_fmac_f32_e32 v28, v28, v29
	v_mov_b32_e32 v29, 0xbab64f3b
	v_fmac_f32_e32 v29, 0x37d75334, v27
	v_fma_f32 v29, v27, v29, v6
	v_fma_f32 v29, v27, v29, v7
	v_fma_f32 v27, v27, v29, 1.0
	v_and_b32_e32 v29, 1, v26
	v_lshlrev_b32_e32 v26, 30, v26
	v_cmp_eq_u32_e32 vcc, 0, v29
	v_and_b32_e32 v26, 0x80000000, v26
	v_xor_b32_e32 v25, v25, v17
	v_cndmask_b32_e32 v27, v27, v28, vcc
	v_xor_b32_e32 v25, v25, v26
	v_xor_b32_e32 v25, v25, v27
	v_mul_f32_e32 v26, v30, v30
	v_mov_b32_e32 v27, 0x3c0881c4
	v_fmac_f32_e32 v27, 0xb94c1982, v26
	v_fma_f32 v27, v26, v27, v2
	v_mul_f32_e32 v27, v26, v27
	v_fmac_f32_e32 v30, v30, v27
	v_mov_b32_e32 v27, 0xbab64f3b
	v_fmac_f32_e32 v27, 0x37d75334, v26
	v_fma_f32 v27, v26, v27, v6
	v_fma_f32 v27, v26, v27, v7
	v_fma_f32 v26, v26, v27, 1.0
	v_and_b32_e32 v27, 1, v0
	v_cmp_eq_u32_e64 s[0:1], 0, v27
	v_lshlrev_b32_e32 v0, 30, v0
	v_cndmask_b32_e64 v26, -v30, v26, s[0:1]
	v_and_b32_e32 v0, 0x80000000, v0
	v_cmp_class_f32_e64 vcc, v17, s14
	v_xor_b32_e32 v0, v0, v26
	v_cndmask_b32_e32 v27, v8, v0, vcc
	v_cndmask_b32_e32 v25, v8, v25, vcc
	v_fma_f32 v26, -v3, v27, v14
	v_mul_f32_e32 v0, v12, v25
	v_mul_f32_e32 v26, v26, v26
	v_fmac_f32_e32 v26, v0, v0
	v_mul_f32_e32 v0, 0x4f800000, v26
	v_cmp_gt_f32_e32 vcc, s15, v26
	v_cndmask_b32_e32 v0, v26, v0, vcc
	v_sqrt_f32_e32 v28, v0
	v_mul_f32_e32 v25, v13, v25
	v_fma_f32 v27, v13, v27, v15
	v_add_u32_e32 v29, -1, v28
	v_fma_f32 v30, -v29, v28, v0
	v_cmp_ge_f32_e64 s[0:1], 0, v30
	v_add_u32_e32 v30, 1, v28
	v_cndmask_b32_e64 v29, v28, v29, s[0:1]
	v_fma_f32 v28, -v30, v28, v0
	v_cmp_lt_f32_e64 s[0:1], 0, v28
	v_cndmask_b32_e64 v28, v29, v30, s[0:1]
	v_mul_f32_e32 v29, 0x37800000, v28
	v_cndmask_b32_e32 v28, v28, v29, vcc
	v_cmp_class_f32_e32 vcc, v0, v9
	v_cndmask_b32_e32 v0, v28, v0, vcc
	v_div_scale_f32 v28, s[0:1], v0, v0, v25
	v_div_scale_f32 v29, vcc, v25, v0, v25
	v_rcp_f32_e32 v30, v28
	v_fma_f32 v31, -v28, v30, 1.0
	v_fmac_f32_e32 v30, v31, v30
	v_mul_f32_e32 v31, v29, v30
	v_fma_f32 v32, -v28, v31, v29
	v_fmac_f32_e32 v31, v32, v30
	v_fma_f32 v28, -v28, v31, v29
	v_div_fmas_f32 v28, v28, v30, v31
	v_div_fixup_f32 v30, v28, v0, v25
	v_fma_f32 v28, -v30, v30, 1.0
	v_cmp_lt_f32_e32 vcc, 0, v28
	v_mov_b32_e32 v25, v16
	s_and_saveexec_b64 s[0:1], vcc
	s_cbranch_execz .LBB0_18
; %bb.28:                               ;   in Loop: Header=BB0_19 Depth=1
	v_div_scale_f32 v25, s[2:3], v28, v28, v16
	v_div_scale_f32 v29, vcc, v16, v28, v16
	v_rcp_f32_e32 v31, v25
	v_fma_f32 v32, -v25, v31, 1.0
	v_fmac_f32_e32 v31, v32, v31
	v_mul_f32_e32 v32, v29, v31
	v_fma_f32 v33, -v25, v32, v29
	v_fmac_f32_e32 v32, v33, v31
	v_fma_f32 v25, -v25, v32, v29
	v_div_fmas_f32 v25, v25, v31, v32
	v_div_fixup_f32 v25, v25, v28, v16
	v_sub_f32_e32 v25, v27, v25
	s_branch .LBB0_18
.LBB0_29:
	s_or_b64 exec, exec, s[8:9]
	s_mov_b32 s0, 0x3bdcd6ff
	v_fma_f32 v1, v28, s0, 1.0
	s_mov_b32 s0, 0xf800000
	v_mul_f32_e32 v2, 0x4f800000, v1
	v_cmp_gt_f32_e32 vcc, s0, v1
	v_cndmask_b32_e32 v1, v1, v2, vcc
	v_sqrt_f32_e32 v2, v1
	s_mov_b32 s2, 0x40c00000
	v_add_u32_e32 v3, -1, v2
	v_fma_f32 v6, -v3, v2, v1
	v_cmp_ge_f32_e64 s[0:1], 0, v6
	v_add_u32_e32 v6, 1, v2
	v_cndmask_b32_e64 v3, v2, v3, s[0:1]
	v_fma_f32 v2, -v6, v2, v1
	v_cmp_lt_f32_e64 s[0:1], 0, v2
	v_cndmask_b32_e64 v2, v3, v6, s[0:1]
	v_mul_f32_e32 v3, 0x37800000, v2
	v_cndmask_b32_e32 v2, v2, v3, vcc
	v_mov_b32_e32 v3, 0x260
	v_cmp_class_f32_e32 vcc, v1, v3
	v_cndmask_b32_e32 v1, v2, v1, vcc
	v_add_f32_e32 v1, 1.0, v1
	v_add_f32_e32 v2, -2.0, v1
	v_div_scale_f32 v3, s[0:1], v1, v1, v2
	v_div_scale_f32 v6, vcc, v2, v1, v2
	s_mov_b32 s0, 0x3e800000
	v_rcp_f32_e32 v7, v3
	v_fma_f32 v8, -v3, v7, 1.0
	v_fmac_f32_e32 v7, v8, v7
	v_mul_f32_e32 v8, v6, v7
	v_fma_f32 v9, -v3, v8, v6
	v_fmac_f32_e32 v8, v9, v7
	v_fma_f32 v3, -v3, v8, v6
	v_div_fmas_f32 v3, v3, v7, v8
	v_sub_f32_e32 v6, 1.0, v29
	v_mul_f32_e32 v7, v0, v0
	v_mov_b32_e32 v8, 0xc0400000
	v_sub_f32_e32 v6, v6, v29
	v_fmac_f32_e32 v8, 4.0, v7
	v_mul_f32_e32 v6, v8, v6
	v_mul_f32_e32 v6, v25, v6
	v_div_fixup_f32 v1, v3, v1, v2
	v_mul_f32_e32 v2, v1, v1
	v_mul_f32_e32 v7, 0x3ec00000, v1
	v_sub_f32_e32 v3, 1.0, v1
	v_fma_f32 v8, v2, s0, 1.0
	v_fma_f32 v2, v1, v7, -1.0
	v_div_scale_f32 v7, s[0:1], v3, v3, v8
	v_mul_f32_e32 v9, v1, v2
	v_mul_f32_e32 v6, v9, v6
	v_div_scale_f32 v1, s[0:1], s2, s2, v6
	v_div_scale_f32 v2, vcc, v8, v3, v8
	v_div_scale_f32 v10, s[0:1], v6, s2, v6
	v_rcp_f32_e32 v11, v7
	v_rcp_f32_e32 v12, v1
	v_fma_f32 v13, -v7, v11, 1.0
	v_fmac_f32_e32 v11, v13, v11
	v_mul_f32_e32 v13, v2, v11
	v_fma_f32 v14, -v1, v12, 1.0
	v_fma_f32 v15, -v7, v13, v2
	v_fmac_f32_e32 v12, v14, v12
	v_fmac_f32_e32 v13, v15, v11
	v_mul_f32_e32 v14, v10, v12
	v_fma_f32 v2, -v7, v13, v2
	v_fma_f32 v7, -v1, v14, v10
	v_fmac_f32_e32 v14, v7, v12
	v_div_fmas_f32 v11, v2, v11, v13
	v_fma_f32 v1, -v1, v14, v10
	s_mov_b64 vcc, s[0:1]
	v_div_fmas_f32 v7, v1, v12, v14
	v_lshlrev_b64 v[1:2], 2, v[4:5]
	s_waitcnt lgkmcnt(0)
	v_mov_b32_e32 v4, s7
	v_div_fixup_f32 v3, v11, v3, v8
	v_div_fixup_f32 v5, v7, s2, v6
	v_sub_f32_e32 v5, v5, v27
	v_mul_f32_e32 v5, v9, v5
	v_fmac_f32_e32 v25, 0x3e800000, v5
	v_mul_f32_e32 v0, v0, v25
	v_fmac_f32_e32 v26, v9, v0
	v_mul_f32_e32 v0, v3, v26
	v_mul_f32_e32 v3, 0x4ac1fe21, v0
	v_add_co_u32_e32 v0, vcc, s6, v1
	v_addc_co_u32_e32 v1, vcc, v4, v2, vcc
	global_store_dword v[0:1], v3, off
.LBB0_30:
	s_endpgm
	.section	.rodata,"a",@progbits
	.p2align	6, 0x0
	.amdhsa_kernel _Z15kernel_distancePK15HIP_vector_typeIfLj4EEPfi
		.amdhsa_group_segment_fixed_size 0
		.amdhsa_private_segment_fixed_size 0
		.amdhsa_kernarg_size 280
		.amdhsa_user_sgpr_count 6
		.amdhsa_user_sgpr_private_segment_buffer 1
		.amdhsa_user_sgpr_dispatch_ptr 0
		.amdhsa_user_sgpr_queue_ptr 0
		.amdhsa_user_sgpr_kernarg_segment_ptr 1
		.amdhsa_user_sgpr_dispatch_id 0
		.amdhsa_user_sgpr_flat_scratch_init 0
		.amdhsa_user_sgpr_private_segment_size 0
		.amdhsa_uses_dynamic_stack 0
		.amdhsa_system_sgpr_private_segment_wavefront_offset 0
		.amdhsa_system_sgpr_workgroup_id_x 1
		.amdhsa_system_sgpr_workgroup_id_y 0
		.amdhsa_system_sgpr_workgroup_id_z 0
		.amdhsa_system_sgpr_workgroup_info 0
		.amdhsa_system_vgpr_workitem_id 0
		.amdhsa_next_free_vgpr 39
		.amdhsa_next_free_sgpr 34
		.amdhsa_reserve_vcc 1
		.amdhsa_reserve_flat_scratch 0
		.amdhsa_float_round_mode_32 0
		.amdhsa_float_round_mode_16_64 0
		.amdhsa_float_denorm_mode_32 3
		.amdhsa_float_denorm_mode_16_64 3
		.amdhsa_dx10_clamp 1
		.amdhsa_ieee_mode 1
		.amdhsa_fp16_overflow 0
		.amdhsa_exception_fp_ieee_invalid_op 0
		.amdhsa_exception_fp_denorm_src 0
		.amdhsa_exception_fp_ieee_div_zero 0
		.amdhsa_exception_fp_ieee_overflow 0
		.amdhsa_exception_fp_ieee_underflow 0
		.amdhsa_exception_fp_ieee_inexact 0
		.amdhsa_exception_int_div_zero 0
	.end_amdhsa_kernel
	.text
.Lfunc_end0:
	.size	_Z15kernel_distancePK15HIP_vector_typeIfLj4EEPfi, .Lfunc_end0-_Z15kernel_distancePK15HIP_vector_typeIfLj4EEPfi
                                        ; -- End function
	.set _Z15kernel_distancePK15HIP_vector_typeIfLj4EEPfi.num_vgpr, 39
	.set _Z15kernel_distancePK15HIP_vector_typeIfLj4EEPfi.num_agpr, 0
	.set _Z15kernel_distancePK15HIP_vector_typeIfLj4EEPfi.numbered_sgpr, 34
	.set _Z15kernel_distancePK15HIP_vector_typeIfLj4EEPfi.num_named_barrier, 0
	.set _Z15kernel_distancePK15HIP_vector_typeIfLj4EEPfi.private_seg_size, 0
	.set _Z15kernel_distancePK15HIP_vector_typeIfLj4EEPfi.uses_vcc, 1
	.set _Z15kernel_distancePK15HIP_vector_typeIfLj4EEPfi.uses_flat_scratch, 0
	.set _Z15kernel_distancePK15HIP_vector_typeIfLj4EEPfi.has_dyn_sized_stack, 0
	.set _Z15kernel_distancePK15HIP_vector_typeIfLj4EEPfi.has_recursion, 0
	.set _Z15kernel_distancePK15HIP_vector_typeIfLj4EEPfi.has_indirect_call, 0
	.section	.AMDGPU.csdata,"",@progbits
; Kernel info:
; codeLenInByte = 6868
; TotalNumSgprs: 38
; NumVgprs: 39
; ScratchSize: 0
; MemoryBound: 0
; FloatMode: 240
; IeeeMode: 1
; LDSByteSize: 0 bytes/workgroup (compile time only)
; SGPRBlocks: 4
; VGPRBlocks: 9
; NumSGPRsForWavesPerEU: 38
; NumVGPRsForWavesPerEU: 39
; Occupancy: 6
; WaveLimiterHint : 0
; COMPUTE_PGM_RSRC2:SCRATCH_EN: 0
; COMPUTE_PGM_RSRC2:USER_SGPR: 6
; COMPUTE_PGM_RSRC2:TRAP_HANDLER: 0
; COMPUTE_PGM_RSRC2:TGID_X_EN: 1
; COMPUTE_PGM_RSRC2:TGID_Y_EN: 0
; COMPUTE_PGM_RSRC2:TGID_Z_EN: 0
; COMPUTE_PGM_RSRC2:TIDIG_COMP_CNT: 0
	.section	.AMDGPU.gpr_maximums,"",@progbits
	.set amdgpu.max_num_vgpr, 0
	.set amdgpu.max_num_agpr, 0
	.set amdgpu.max_num_sgpr, 0
	.section	.AMDGPU.csdata,"",@progbits
	.type	__hip_cuid_4e229ffe0dcfd421,@object ; @__hip_cuid_4e229ffe0dcfd421
	.section	.bss,"aw",@nobits
	.globl	__hip_cuid_4e229ffe0dcfd421
__hip_cuid_4e229ffe0dcfd421:
	.byte	0                               ; 0x0
	.size	__hip_cuid_4e229ffe0dcfd421, 1

	.ident	"AMD clang version 22.0.0git (https://github.com/RadeonOpenCompute/llvm-project roc-7.2.4 26084 f58b06dce1f9c15707c5f808fd002e18c2accf7e)"
	.section	".note.GNU-stack","",@progbits
	.addrsig
	.addrsig_sym __hip_cuid_4e229ffe0dcfd421
	.amdgpu_metadata
---
amdhsa.kernels:
  - .args:
      - .actual_access:  read_only
        .address_space:  global
        .offset:         0
        .size:           8
        .value_kind:     global_buffer
      - .actual_access:  write_only
        .address_space:  global
        .offset:         8
        .size:           8
        .value_kind:     global_buffer
      - .offset:         16
        .size:           4
        .value_kind:     by_value
      - .offset:         24
        .size:           4
        .value_kind:     hidden_block_count_x
      - .offset:         28
        .size:           4
        .value_kind:     hidden_block_count_y
      - .offset:         32
        .size:           4
        .value_kind:     hidden_block_count_z
      - .offset:         36
        .size:           2
        .value_kind:     hidden_group_size_x
      - .offset:         38
        .size:           2
        .value_kind:     hidden_group_size_y
      - .offset:         40
        .size:           2
        .value_kind:     hidden_group_size_z
      - .offset:         42
        .size:           2
        .value_kind:     hidden_remainder_x
      - .offset:         44
        .size:           2
        .value_kind:     hidden_remainder_y
      - .offset:         46
        .size:           2
        .value_kind:     hidden_remainder_z
      - .offset:         64
        .size:           8
        .value_kind:     hidden_global_offset_x
      - .offset:         72
        .size:           8
        .value_kind:     hidden_global_offset_y
      - .offset:         80
        .size:           8
        .value_kind:     hidden_global_offset_z
      - .offset:         88
        .size:           2
        .value_kind:     hidden_grid_dims
    .group_segment_fixed_size: 0
    .kernarg_segment_align: 8
    .kernarg_segment_size: 280
    .language:       OpenCL C
    .language_version:
      - 2
      - 0
    .max_flat_workgroup_size: 1024
    .name:           _Z15kernel_distancePK15HIP_vector_typeIfLj4EEPfi
    .private_segment_fixed_size: 0
    .sgpr_count:     38
    .sgpr_spill_count: 0
    .symbol:         _Z15kernel_distancePK15HIP_vector_typeIfLj4EEPfi.kd
    .uniform_work_group_size: 1
    .uses_dynamic_stack: false
    .vgpr_count:     39
    .vgpr_spill_count: 0
    .wavefront_size: 64
amdhsa.target:   amdgcn-amd-amdhsa--gfx906
amdhsa.version:
  - 1
  - 2
...

	.end_amdgpu_metadata
